;; amdgpu-corpus repo=ROCm/rocFFT kind=compiled arch=gfx1201 opt=O3
	.text
	.amdgcn_target "amdgcn-amd-amdhsa--gfx1201"
	.amdhsa_code_object_version 6
	.protected	fft_rtc_fwd_len1300_factors_10_10_13_wgs_130_tpt_130_dp_ip_CI_unitstride_sbrr_R2C_dirReg ; -- Begin function fft_rtc_fwd_len1300_factors_10_10_13_wgs_130_tpt_130_dp_ip_CI_unitstride_sbrr_R2C_dirReg
	.globl	fft_rtc_fwd_len1300_factors_10_10_13_wgs_130_tpt_130_dp_ip_CI_unitstride_sbrr_R2C_dirReg
	.p2align	8
	.type	fft_rtc_fwd_len1300_factors_10_10_13_wgs_130_tpt_130_dp_ip_CI_unitstride_sbrr_R2C_dirReg,@function
fft_rtc_fwd_len1300_factors_10_10_13_wgs_130_tpt_130_dp_ip_CI_unitstride_sbrr_R2C_dirReg: ; @fft_rtc_fwd_len1300_factors_10_10_13_wgs_130_tpt_130_dp_ip_CI_unitstride_sbrr_R2C_dirReg
; %bb.0:
	s_clause 0x2
	s_load_b128 s[4:7], s[0:1], 0x0
	s_load_b64 s[8:9], s[0:1], 0x50
	s_load_b64 s[10:11], s[0:1], 0x18
	v_mul_u32_u24_e32 v1, 0x1f9, v0
	v_mov_b32_e32 v3, 0
	s_delay_alu instid0(VALU_DEP_2) | instskip(NEXT) | instid1(VALU_DEP_1)
	v_lshrrev_b32_e32 v1, 16, v1
	v_add_nc_u32_e32 v5, ttmp9, v1
	v_mov_b32_e32 v1, 0
	v_mov_b32_e32 v2, 0
	;; [unrolled: 1-line block ×3, first 2 shown]
	s_wait_kmcnt 0x0
	v_cmp_lt_u64_e64 s2, s[6:7], 2
	s_delay_alu instid0(VALU_DEP_1)
	s_and_b32 vcc_lo, exec_lo, s2
	s_cbranch_vccnz .LBB0_8
; %bb.1:
	s_load_b64 s[2:3], s[0:1], 0x10
	v_mov_b32_e32 v1, 0
	v_mov_b32_e32 v2, 0
	s_add_nc_u64 s[12:13], s[10:11], 8
	s_mov_b64 s[14:15], 1
	s_wait_kmcnt 0x0
	s_add_nc_u64 s[16:17], s[2:3], 8
	s_mov_b32 s3, 0
.LBB0_2:                                ; =>This Inner Loop Header: Depth=1
	s_load_b64 s[18:19], s[16:17], 0x0
                                        ; implicit-def: $vgpr7_vgpr8
	s_mov_b32 s2, exec_lo
	s_wait_kmcnt 0x0
	v_or_b32_e32 v4, s19, v6
	s_delay_alu instid0(VALU_DEP_1)
	v_cmpx_ne_u64_e32 0, v[3:4]
	s_wait_alu 0xfffe
	s_xor_b32 s20, exec_lo, s2
	s_cbranch_execz .LBB0_4
; %bb.3:                                ;   in Loop: Header=BB0_2 Depth=1
	s_cvt_f32_u32 s2, s18
	s_cvt_f32_u32 s21, s19
	s_sub_nc_u64 s[24:25], 0, s[18:19]
	s_wait_alu 0xfffe
	s_delay_alu instid0(SALU_CYCLE_1) | instskip(SKIP_1) | instid1(SALU_CYCLE_2)
	s_fmamk_f32 s2, s21, 0x4f800000, s2
	s_wait_alu 0xfffe
	v_s_rcp_f32 s2, s2
	s_delay_alu instid0(TRANS32_DEP_1) | instskip(SKIP_1) | instid1(SALU_CYCLE_2)
	s_mul_f32 s2, s2, 0x5f7ffffc
	s_wait_alu 0xfffe
	s_mul_f32 s21, s2, 0x2f800000
	s_wait_alu 0xfffe
	s_delay_alu instid0(SALU_CYCLE_2) | instskip(SKIP_1) | instid1(SALU_CYCLE_2)
	s_trunc_f32 s21, s21
	s_wait_alu 0xfffe
	s_fmamk_f32 s2, s21, 0xcf800000, s2
	s_cvt_u32_f32 s23, s21
	s_wait_alu 0xfffe
	s_delay_alu instid0(SALU_CYCLE_1) | instskip(SKIP_1) | instid1(SALU_CYCLE_2)
	s_cvt_u32_f32 s22, s2
	s_wait_alu 0xfffe
	s_mul_u64 s[26:27], s[24:25], s[22:23]
	s_wait_alu 0xfffe
	s_mul_hi_u32 s29, s22, s27
	s_mul_i32 s28, s22, s27
	s_mul_hi_u32 s2, s22, s26
	s_mul_i32 s30, s23, s26
	s_wait_alu 0xfffe
	s_add_nc_u64 s[28:29], s[2:3], s[28:29]
	s_mul_hi_u32 s21, s23, s26
	s_mul_hi_u32 s31, s23, s27
	s_add_co_u32 s2, s28, s30
	s_wait_alu 0xfffe
	s_add_co_ci_u32 s2, s29, s21
	s_mul_i32 s26, s23, s27
	s_add_co_ci_u32 s27, s31, 0
	s_wait_alu 0xfffe
	s_add_nc_u64 s[26:27], s[2:3], s[26:27]
	s_wait_alu 0xfffe
	v_add_co_u32 v4, s2, s22, s26
	s_delay_alu instid0(VALU_DEP_1) | instskip(SKIP_1) | instid1(VALU_DEP_1)
	s_cmp_lg_u32 s2, 0
	s_add_co_ci_u32 s23, s23, s27
	v_readfirstlane_b32 s22, v4
	s_wait_alu 0xfffe
	s_delay_alu instid0(VALU_DEP_1)
	s_mul_u64 s[24:25], s[24:25], s[22:23]
	s_wait_alu 0xfffe
	s_mul_hi_u32 s27, s22, s25
	s_mul_i32 s26, s22, s25
	s_mul_hi_u32 s2, s22, s24
	s_mul_i32 s28, s23, s24
	s_wait_alu 0xfffe
	s_add_nc_u64 s[26:27], s[2:3], s[26:27]
	s_mul_hi_u32 s21, s23, s24
	s_mul_hi_u32 s22, s23, s25
	s_wait_alu 0xfffe
	s_add_co_u32 s2, s26, s28
	s_add_co_ci_u32 s2, s27, s21
	s_mul_i32 s24, s23, s25
	s_add_co_ci_u32 s25, s22, 0
	s_wait_alu 0xfffe
	s_add_nc_u64 s[24:25], s[2:3], s[24:25]
	s_wait_alu 0xfffe
	v_add_co_u32 v4, s2, v4, s24
	s_delay_alu instid0(VALU_DEP_1) | instskip(SKIP_1) | instid1(VALU_DEP_1)
	s_cmp_lg_u32 s2, 0
	s_add_co_ci_u32 s2, s23, s25
	v_mul_hi_u32 v13, v5, v4
	s_wait_alu 0xfffe
	v_mad_co_u64_u32 v[7:8], null, v5, s2, 0
	v_mad_co_u64_u32 v[9:10], null, v6, v4, 0
	;; [unrolled: 1-line block ×3, first 2 shown]
	s_delay_alu instid0(VALU_DEP_3) | instskip(SKIP_1) | instid1(VALU_DEP_4)
	v_add_co_u32 v4, vcc_lo, v13, v7
	s_wait_alu 0xfffd
	v_add_co_ci_u32_e32 v7, vcc_lo, 0, v8, vcc_lo
	s_delay_alu instid0(VALU_DEP_2) | instskip(SKIP_1) | instid1(VALU_DEP_2)
	v_add_co_u32 v4, vcc_lo, v4, v9
	s_wait_alu 0xfffd
	v_add_co_ci_u32_e32 v4, vcc_lo, v7, v10, vcc_lo
	s_wait_alu 0xfffd
	v_add_co_ci_u32_e32 v7, vcc_lo, 0, v12, vcc_lo
	s_delay_alu instid0(VALU_DEP_2) | instskip(SKIP_1) | instid1(VALU_DEP_2)
	v_add_co_u32 v4, vcc_lo, v4, v11
	s_wait_alu 0xfffd
	v_add_co_ci_u32_e32 v9, vcc_lo, 0, v7, vcc_lo
	s_delay_alu instid0(VALU_DEP_2) | instskip(SKIP_1) | instid1(VALU_DEP_3)
	v_mul_lo_u32 v10, s19, v4
	v_mad_co_u64_u32 v[7:8], null, s18, v4, 0
	v_mul_lo_u32 v11, s18, v9
	s_delay_alu instid0(VALU_DEP_2) | instskip(NEXT) | instid1(VALU_DEP_2)
	v_sub_co_u32 v7, vcc_lo, v5, v7
	v_add3_u32 v8, v8, v11, v10
	s_delay_alu instid0(VALU_DEP_1) | instskip(SKIP_1) | instid1(VALU_DEP_1)
	v_sub_nc_u32_e32 v10, v6, v8
	s_wait_alu 0xfffd
	v_subrev_co_ci_u32_e64 v10, s2, s19, v10, vcc_lo
	v_add_co_u32 v11, s2, v4, 2
	s_wait_alu 0xf1ff
	v_add_co_ci_u32_e64 v12, s2, 0, v9, s2
	v_sub_co_u32 v13, s2, v7, s18
	v_sub_co_ci_u32_e32 v8, vcc_lo, v6, v8, vcc_lo
	s_wait_alu 0xf1ff
	v_subrev_co_ci_u32_e64 v10, s2, 0, v10, s2
	s_delay_alu instid0(VALU_DEP_3) | instskip(NEXT) | instid1(VALU_DEP_3)
	v_cmp_le_u32_e32 vcc_lo, s18, v13
	v_cmp_eq_u32_e64 s2, s19, v8
	s_wait_alu 0xfffd
	v_cndmask_b32_e64 v13, 0, -1, vcc_lo
	v_cmp_le_u32_e32 vcc_lo, s19, v10
	s_wait_alu 0xfffd
	v_cndmask_b32_e64 v14, 0, -1, vcc_lo
	v_cmp_le_u32_e32 vcc_lo, s18, v7
	;; [unrolled: 3-line block ×3, first 2 shown]
	s_wait_alu 0xfffd
	v_cndmask_b32_e64 v15, 0, -1, vcc_lo
	v_cmp_eq_u32_e32 vcc_lo, s19, v10
	s_wait_alu 0xf1ff
	s_delay_alu instid0(VALU_DEP_2)
	v_cndmask_b32_e64 v7, v15, v7, s2
	s_wait_alu 0xfffd
	v_cndmask_b32_e32 v10, v14, v13, vcc_lo
	v_add_co_u32 v13, vcc_lo, v4, 1
	s_wait_alu 0xfffd
	v_add_co_ci_u32_e32 v14, vcc_lo, 0, v9, vcc_lo
	s_delay_alu instid0(VALU_DEP_3) | instskip(SKIP_2) | instid1(VALU_DEP_3)
	v_cmp_ne_u32_e32 vcc_lo, 0, v10
	s_wait_alu 0xfffd
	v_cndmask_b32_e32 v10, v13, v11, vcc_lo
	v_cndmask_b32_e32 v8, v14, v12, vcc_lo
	v_cmp_ne_u32_e32 vcc_lo, 0, v7
	s_wait_alu 0xfffd
	s_delay_alu instid0(VALU_DEP_2)
	v_dual_cndmask_b32 v7, v4, v10 :: v_dual_cndmask_b32 v8, v9, v8
.LBB0_4:                                ;   in Loop: Header=BB0_2 Depth=1
	s_wait_alu 0xfffe
	s_and_not1_saveexec_b32 s2, s20
	s_cbranch_execz .LBB0_6
; %bb.5:                                ;   in Loop: Header=BB0_2 Depth=1
	v_cvt_f32_u32_e32 v4, s18
	s_sub_co_i32 s20, 0, s18
	s_delay_alu instid0(VALU_DEP_1) | instskip(NEXT) | instid1(TRANS32_DEP_1)
	v_rcp_iflag_f32_e32 v4, v4
	v_mul_f32_e32 v4, 0x4f7ffffe, v4
	s_delay_alu instid0(VALU_DEP_1) | instskip(SKIP_1) | instid1(VALU_DEP_1)
	v_cvt_u32_f32_e32 v4, v4
	s_wait_alu 0xfffe
	v_mul_lo_u32 v7, s20, v4
	s_delay_alu instid0(VALU_DEP_1) | instskip(NEXT) | instid1(VALU_DEP_1)
	v_mul_hi_u32 v7, v4, v7
	v_add_nc_u32_e32 v4, v4, v7
	s_delay_alu instid0(VALU_DEP_1) | instskip(NEXT) | instid1(VALU_DEP_1)
	v_mul_hi_u32 v4, v5, v4
	v_mul_lo_u32 v7, v4, s18
	v_add_nc_u32_e32 v8, 1, v4
	s_delay_alu instid0(VALU_DEP_2) | instskip(NEXT) | instid1(VALU_DEP_1)
	v_sub_nc_u32_e32 v7, v5, v7
	v_subrev_nc_u32_e32 v9, s18, v7
	v_cmp_le_u32_e32 vcc_lo, s18, v7
	s_wait_alu 0xfffd
	s_delay_alu instid0(VALU_DEP_2) | instskip(NEXT) | instid1(VALU_DEP_1)
	v_dual_cndmask_b32 v7, v7, v9 :: v_dual_cndmask_b32 v4, v4, v8
	v_cmp_le_u32_e32 vcc_lo, s18, v7
	s_delay_alu instid0(VALU_DEP_2) | instskip(SKIP_1) | instid1(VALU_DEP_1)
	v_add_nc_u32_e32 v8, 1, v4
	s_wait_alu 0xfffd
	v_dual_cndmask_b32 v7, v4, v8 :: v_dual_mov_b32 v8, v3
.LBB0_6:                                ;   in Loop: Header=BB0_2 Depth=1
	s_wait_alu 0xfffe
	s_or_b32 exec_lo, exec_lo, s2
	s_load_b64 s[20:21], s[12:13], 0x0
	s_delay_alu instid0(VALU_DEP_1)
	v_mul_lo_u32 v4, v8, s18
	v_mul_lo_u32 v11, v7, s19
	v_mad_co_u64_u32 v[9:10], null, v7, s18, 0
	s_add_nc_u64 s[14:15], s[14:15], 1
	s_add_nc_u64 s[12:13], s[12:13], 8
	s_wait_alu 0xfffe
	v_cmp_ge_u64_e64 s2, s[14:15], s[6:7]
	s_add_nc_u64 s[16:17], s[16:17], 8
	s_delay_alu instid0(VALU_DEP_2) | instskip(NEXT) | instid1(VALU_DEP_3)
	v_add3_u32 v4, v10, v11, v4
	v_sub_co_u32 v5, vcc_lo, v5, v9
	s_wait_alu 0xfffd
	s_delay_alu instid0(VALU_DEP_2) | instskip(SKIP_3) | instid1(VALU_DEP_2)
	v_sub_co_ci_u32_e32 v4, vcc_lo, v6, v4, vcc_lo
	s_and_b32 vcc_lo, exec_lo, s2
	s_wait_kmcnt 0x0
	v_mul_lo_u32 v6, s21, v5
	v_mul_lo_u32 v4, s20, v4
	v_mad_co_u64_u32 v[1:2], null, s20, v5, v[1:2]
	s_delay_alu instid0(VALU_DEP_1)
	v_add3_u32 v2, v6, v2, v4
	s_wait_alu 0xfffe
	s_cbranch_vccnz .LBB0_9
; %bb.7:                                ;   in Loop: Header=BB0_2 Depth=1
	v_dual_mov_b32 v5, v7 :: v_dual_mov_b32 v6, v8
	s_branch .LBB0_2
.LBB0_8:
	v_dual_mov_b32 v8, v6 :: v_dual_mov_b32 v7, v5
.LBB0_9:
	s_lshl_b64 s[2:3], s[6:7], 3
	v_mul_hi_u32 v3, 0x1f81f82, v0
	s_wait_alu 0xfffe
	s_add_nc_u64 s[2:3], s[10:11], s[2:3]
	s_load_b64 s[2:3], s[2:3], 0x0
	s_load_b64 s[0:1], s[0:1], 0x20
	s_delay_alu instid0(VALU_DEP_1) | instskip(NEXT) | instid1(VALU_DEP_1)
	v_mul_u32_u24_e32 v3, 0x82, v3
	v_sub_nc_u32_e32 v100, v0, v3
	s_delay_alu instid0(VALU_DEP_1)
	v_lshl_add_u32 v104, v100, 4, 0
	s_wait_kmcnt 0x0
	v_mul_lo_u32 v4, s2, v8
	v_mul_lo_u32 v5, s3, v7
	v_mad_co_u64_u32 v[1:2], null, s2, v7, v[1:2]
	v_cmp_gt_u64_e32 vcc_lo, s[0:1], v[7:8]
	s_delay_alu instid0(VALU_DEP_2) | instskip(NEXT) | instid1(VALU_DEP_1)
	v_add3_u32 v2, v5, v2, v4
	v_lshlrev_b64_e32 v[98:99], 4, v[1:2]
	s_and_saveexec_b32 s1, vcc_lo
	s_cbranch_execz .LBB0_11
; %bb.10:
	v_mov_b32_e32 v101, 0
	s_delay_alu instid0(VALU_DEP_2) | instskip(SKIP_2) | instid1(VALU_DEP_3)
	v_add_co_u32 v2, s0, s8, v98
	s_wait_alu 0xf1ff
	v_add_co_ci_u32_e64 v3, s0, s9, v99, s0
	v_lshlrev_b64_e32 v[0:1], 4, v[100:101]
	s_delay_alu instid0(VALU_DEP_1) | instskip(SKIP_1) | instid1(VALU_DEP_2)
	v_add_co_u32 v36, s0, v2, v0
	s_wait_alu 0xf1ff
	v_add_co_ci_u32_e64 v37, s0, v3, v1, s0
	s_clause 0x9
	global_load_b128 v[0:3], v[36:37], off
	global_load_b128 v[4:7], v[36:37], off offset:2080
	global_load_b128 v[8:11], v[36:37], off offset:4160
	;; [unrolled: 1-line block ×9, first 2 shown]
	s_wait_loadcnt 0x9
	ds_store_b128 v104, v[0:3]
	s_wait_loadcnt 0x8
	ds_store_b128 v104, v[4:7] offset:2080
	s_wait_loadcnt 0x7
	ds_store_b128 v104, v[8:11] offset:4160
	;; [unrolled: 2-line block ×9, first 2 shown]
.LBB0_11:
	s_wait_alu 0xfffe
	s_or_b32 exec_lo, exec_lo, s1
	global_wb scope:SCOPE_SE
	s_wait_dscnt 0x0
	s_barrier_signal -1
	s_barrier_wait -1
	global_inv scope:SCOPE_SE
	ds_load_b128 v[0:3], v104 offset:10400
	ds_load_b128 v[4:7], v104 offset:14560
	;; [unrolled: 1-line block ×9, first 2 shown]
	ds_load_b128 v[36:39], v104
	s_mov_b32 s2, 0x134454ff
	s_mov_b32 s3, 0x3fee6f0e
	;; [unrolled: 1-line block ×3, first 2 shown]
	s_wait_alu 0xfffe
	s_mov_b32 s0, s2
	s_mov_b32 s6, 0x4755a5e
	;; [unrolled: 1-line block ×4, first 2 shown]
	s_wait_alu 0xfffe
	s_mov_b32 s10, s6
	s_mov_b32 s12, 0x372fe950
	;; [unrolled: 1-line block ×5, first 2 shown]
	s_wait_dscnt 0x8
	v_add_f64_e32 v[40:41], v[0:1], v[4:5]
	v_add_f64_e32 v[46:47], v[2:3], v[6:7]
	s_wait_dscnt 0x6
	v_add_f64_e32 v[42:43], v[14:15], v[10:11]
	v_add_f64_e32 v[44:45], v[12:13], v[8:9]
	v_add_f64_e64 v[48:49], v[14:15], -v[10:11]
	v_add_f64_e64 v[50:51], v[2:3], -v[6:7]
	;; [unrolled: 1-line block ×4, first 2 shown]
	s_wait_dscnt 0x3
	v_add_f64_e32 v[56:57], v[20:21], v[24:25]
	s_wait_dscnt 0x2
	v_add_f64_e32 v[58:59], v[16:17], v[28:29]
	v_add_f64_e32 v[60:61], v[22:23], v[26:27]
	;; [unrolled: 1-line block ×3, first 2 shown]
	v_add_f64_e64 v[64:65], v[12:13], -v[0:1]
	v_add_f64_e64 v[66:67], v[8:9], -v[4:5]
	;; [unrolled: 1-line block ×8, first 2 shown]
	s_wait_dscnt 0x1
	v_add_f64_e32 v[12:13], v[32:33], v[12:13]
	v_add_f64_e32 v[14:15], v[34:35], v[14:15]
	v_add_f64_e64 v[88:89], v[18:19], -v[30:31]
	v_add_f64_e64 v[90:91], v[22:23], -v[26:27]
	;; [unrolled: 1-line block ×4, first 2 shown]
	global_wb scope:SCOPE_SE
	s_wait_dscnt 0x0
	s_barrier_signal -1
	s_barrier_wait -1
	global_inv scope:SCOPE_SE
	v_fma_f64 v[40:41], v[40:41], -0.5, v[32:33]
	v_fma_f64 v[46:47], v[46:47], -0.5, v[34:35]
	;; [unrolled: 1-line block ×4, first 2 shown]
	v_add_f64_e32 v[32:33], v[36:37], v[16:17]
	v_add_f64_e32 v[34:35], v[38:39], v[18:19]
	v_fma_f64 v[56:57], v[56:57], -0.5, v[36:37]
	v_fma_f64 v[36:37], v[58:59], -0.5, v[36:37]
	;; [unrolled: 1-line block ×4, first 2 shown]
	v_add_f64_e32 v[60:61], v[64:65], v[66:67]
	v_add_f64_e32 v[62:63], v[68:69], v[70:71]
	;; [unrolled: 1-line block ×3, first 2 shown]
	v_add_f64_e64 v[72:73], v[28:29], -v[24:25]
	v_add_f64_e64 v[74:75], v[24:25], -v[28:29]
	v_add_f64_e32 v[0:1], v[12:13], v[0:1]
	v_add_f64_e32 v[2:3], v[14:15], v[2:3]
	v_fma_f64 v[78:79], v[48:49], s[2:3], v[40:41]
	v_fma_f64 v[40:41], v[48:49], s[0:1], v[40:41]
	;; [unrolled: 1-line block ×11, first 2 shown]
	v_add_f64_e32 v[0:1], v[0:1], v[4:5]
	v_add_f64_e32 v[2:3], v[2:3], v[6:7]
	v_fma_f64 v[66:67], v[50:51], s[6:7], v[78:79]
	v_fma_f64 v[40:41], v[50:51], s[10:11], v[40:41]
	;; [unrolled: 1-line block ×6, first 2 shown]
	v_add_f64_e32 v[50:51], v[76:77], v[84:85]
	v_fma_f64 v[48:49], v[52:53], s[6:7], v[86:87]
	v_add_f64_e64 v[54:55], v[16:17], -v[20:21]
	v_add_f64_e64 v[16:17], v[20:21], -v[16:17]
	;; [unrolled: 1-line block ×4, first 2 shown]
	v_add_f64_e32 v[20:21], v[32:33], v[20:21]
	v_add_f64_e32 v[22:23], v[34:35], v[22:23]
	v_add_f64_e64 v[78:79], v[30:31], -v[26:27]
	v_fma_f64 v[32:33], v[90:91], s[0:1], v[36:37]
	v_fma_f64 v[34:35], v[90:91], s[2:3], v[36:37]
	;; [unrolled: 1-line block ×6, first 2 shown]
	v_add_f64_e64 v[80:81], v[26:27], -v[30:31]
	v_fma_f64 v[4:5], v[90:91], s[6:7], v[12:13]
	v_fma_f64 v[6:7], v[90:91], s[10:11], v[14:15]
	v_add_f64_e32 v[8:9], v[0:1], v[8:9]
	v_add_f64_e32 v[10:11], v[2:3], v[10:11]
	v_and_b32_e32 v0, 0xff, v100
	v_fma_f64 v[52:53], v[60:61], s[12:13], v[66:67]
	v_fma_f64 v[40:41], v[60:61], s[12:13], v[40:41]
	;; [unrolled: 1-line block ×7, first 2 shown]
	v_add_f64_e32 v[54:55], v[54:55], v[72:73]
	v_add_f64_e32 v[16:17], v[16:17], v[74:75]
	v_add_f64_e32 v[20:21], v[20:21], v[24:25]
	v_add_f64_e32 v[22:23], v[22:23], v[26:27]
	v_add_f64_e32 v[60:61], v[76:77], v[78:79]
	v_fma_f64 v[12:13], v[88:89], s[6:7], v[32:33]
	v_fma_f64 v[14:15], v[88:89], s[10:11], v[34:35]
	;; [unrolled: 1-line block ×6, first 2 shown]
	v_add_f64_e32 v[18:19], v[18:19], v[80:81]
	v_fma_f64 v[32:33], v[92:93], s[10:11], v[58:59]
	s_wait_alu 0xfffe
	v_mul_f64_e32 v[38:39], s[14:15], v[52:53]
	v_mul_f64_e32 v[52:53], s[10:11], v[52:53]
	v_mul_f64_e32 v[46:47], s[2:3], v[66:67]
	v_mul_f64_e32 v[50:51], s[12:13], v[68:69]
	v_mul_f64_e32 v[58:59], s[0:1], v[44:45]
	v_mul_f64_e32 v[62:63], s[12:13], v[42:43]
	v_mul_f64_e32 v[56:57], s[14:15], v[40:41]
	v_mul_f64_e32 v[64:65], s[14:15], v[48:49]
	v_add_f64_e32 v[20:21], v[20:21], v[28:29]
	v_add_f64_e32 v[22:23], v[22:23], v[30:31]
	v_fma_f64 v[28:29], v[54:55], s[12:13], v[4:5]
	v_fma_f64 v[30:31], v[54:55], s[12:13], v[6:7]
	;; [unrolled: 1-line block ×11, first 2 shown]
	v_fma_f64 v[34:35], v[42:43], s[2:3], -v[50:51]
	v_fma_f64 v[42:43], v[66:67], s[12:13], v[58:59]
	v_fma_f64 v[44:45], v[68:69], s[0:1], -v[62:63]
	v_fma_f64 v[38:39], v[48:49], s[6:7], -v[56:57]
	;; [unrolled: 1-line block ×3, first 2 shown]
	v_mul_lo_u16 v46, 0xcd, v0
	v_add_f64_e32 v[0:1], v[20:21], v[8:9]
	v_add_f64_e32 v[2:3], v[22:23], v[10:11]
	v_add_f64_e64 v[4:5], v[20:21], -v[8:9]
	v_add_f64_e64 v[6:7], v[22:23], -v[10:11]
	v_add_f64_e32 v[8:9], v[28:29], v[24:25]
	v_add_f64_e32 v[10:11], v[72:73], v[36:37]
	;; [unrolled: 1-line block ×8, first 2 shown]
	v_add_f64_e64 v[24:25], v[28:29], -v[24:25]
	v_add_f64_e64 v[28:29], v[54:55], -v[26:27]
	;; [unrolled: 1-line block ×7, first 2 shown]
	v_lshrrev_b16 v32, 11, v46
	v_add_f64_e64 v[40:41], v[60:61], -v[40:41]
	v_mad_u32_u24 v43, 0x90, v100, v104
	ds_store_b128 v43, v[0:3]
	ds_store_b128 v43, v[8:11] offset:16
	ds_store_b128 v43, v[12:15] offset:32
	;; [unrolled: 1-line block ×9, first 2 shown]
	v_mul_lo_u16 v33, v32, 10
	global_wb scope:SCOPE_SE
	s_wait_dscnt 0x0
	s_barrier_signal -1
	s_barrier_wait -1
	global_inv scope:SCOPE_SE
	v_sub_nc_u16 v33, v100, v33
	v_and_b32_e32 v32, 0xffff, v32
	s_delay_alu instid0(VALU_DEP_2) | instskip(NEXT) | instid1(VALU_DEP_2)
	v_and_b32_e32 v33, 0xff, v33
	v_mul_u32_u24_e32 v32, 0x640, v32
	s_delay_alu instid0(VALU_DEP_2) | instskip(SKIP_1) | instid1(VALU_DEP_2)
	v_mul_u32_u24_e32 v42, 9, v33
	v_lshlrev_b32_e32 v33, 4, v33
	v_lshlrev_b32_e32 v42, 4, v42
	s_clause 0x8
	global_load_b128 v[0:3], v42, s[4:5] offset:32
	global_load_b128 v[4:7], v42, s[4:5] offset:64
	;; [unrolled: 1-line block ×4, first 2 shown]
	global_load_b128 v[16:19], v42, s[4:5]
	global_load_b128 v[20:23], v42, s[4:5] offset:16
	global_load_b128 v[24:27], v42, s[4:5] offset:48
	;; [unrolled: 1-line block ×4, first 2 shown]
	ds_load_b128 v[38:41], v104 offset:6240
	ds_load_b128 v[42:45], v104 offset:10400
	;; [unrolled: 1-line block ×9, first 2 shown]
	ds_load_b128 v[74:77], v104
	v_add3_u32 v32, 0, v32, v33
	global_wb scope:SCOPE_SE
	s_wait_loadcnt_dscnt 0x0
	s_barrier_signal -1
	s_barrier_wait -1
	global_inv scope:SCOPE_SE
	v_mul_f64_e32 v[78:79], v[40:41], v[2:3]
	v_mul_f64_e32 v[2:3], v[38:39], v[2:3]
	v_mul_f64_e32 v[80:81], v[44:45], v[6:7]
	v_mul_f64_e32 v[6:7], v[42:43], v[6:7]
	v_mul_f64_e32 v[82:83], v[46:47], v[10:11]
	v_mul_f64_e32 v[84:85], v[50:51], v[14:15]
	v_mul_f64_e32 v[14:15], v[52:53], v[14:15]
	v_mul_f64_e32 v[10:11], v[48:49], v[10:11]
	v_mul_f64_e32 v[86:87], v[72:73], v[18:19]
	v_mul_f64_e32 v[18:19], v[70:71], v[18:19]
	v_fma_f64 v[38:39], v[38:39], v[0:1], -v[78:79]
	v_fma_f64 v[0:1], v[40:41], v[0:1], v[2:3]
	v_fma_f64 v[2:3], v[42:43], v[4:5], -v[80:81]
	v_fma_f64 v[4:5], v[44:45], v[4:5], v[6:7]
	v_fma_f64 v[6:7], v[48:49], v[8:9], v[82:83]
	;; [unrolled: 1-line block ×3, first 2 shown]
	v_fma_f64 v[12:13], v[50:51], v[12:13], -v[14:15]
	v_fma_f64 v[8:9], v[46:47], v[8:9], -v[10:11]
	v_mul_f64_e32 v[10:11], v[56:57], v[22:23]
	v_mul_f64_e32 v[14:15], v[60:61], v[26:27]
	;; [unrolled: 1-line block ×8, first 2 shown]
	v_fma_f64 v[46:47], v[70:71], v[16:17], -v[86:87]
	v_fma_f64 v[16:17], v[72:73], v[16:17], v[18:19]
	v_add_f64_e64 v[70:71], v[0:1], -v[4:5]
	v_add_f64_e32 v[18:19], v[4:5], v[6:7]
	v_add_f64_e32 v[48:49], v[0:1], v[40:41]
	;; [unrolled: 1-line block ×4, first 2 shown]
	v_fma_f64 v[10:11], v[54:55], v[20:21], -v[10:11]
	v_fma_f64 v[14:15], v[58:59], v[24:25], -v[14:15]
	v_fma_f64 v[24:25], v[60:61], v[24:25], v[26:27]
	v_fma_f64 v[26:27], v[62:63], v[28:29], -v[42:43]
	v_fma_f64 v[42:43], v[66:67], v[34:35], -v[44:45]
	v_fma_f64 v[28:29], v[64:65], v[28:29], v[30:31]
	v_fma_f64 v[20:21], v[56:57], v[20:21], v[22:23]
	;; [unrolled: 1-line block ×3, first 2 shown]
	v_add_f64_e64 v[30:31], v[0:1], -v[40:41]
	v_add_f64_e64 v[34:35], v[4:5], -v[6:7]
	;; [unrolled: 1-line block ×11, first 2 shown]
	v_add_f64_e32 v[38:39], v[46:47], v[38:39]
	v_add_f64_e32 v[0:1], v[16:17], v[0:1]
	v_fma_f64 v[18:19], v[18:19], -0.5, v[16:17]
	v_fma_f64 v[48:49], v[48:49], -0.5, v[16:17]
	;; [unrolled: 1-line block ×4, first 2 shown]
	v_add_f64_e32 v[90:91], v[74:75], v[10:11]
	v_add_f64_e32 v[54:55], v[14:15], v[26:27]
	;; [unrolled: 1-line block ×6, first 2 shown]
	v_add_f64_e64 v[16:17], v[20:21], -v[22:23]
	v_add_f64_e64 v[46:47], v[24:25], -v[28:29]
	v_add_f64_e64 v[94:95], v[10:11], -v[42:43]
	v_add_f64_e64 v[96:97], v[14:15], -v[26:27]
	v_add_f64_e32 v[62:63], v[62:63], v[64:65]
	v_add_f64_e32 v[64:65], v[66:67], v[68:69]
	;; [unrolled: 1-line block ×4, first 2 shown]
	v_add_f64_e64 v[78:79], v[22:23], -v[28:29]
	v_add_f64_e64 v[80:81], v[28:29], -v[22:23]
	v_add_f64_e32 v[2:3], v[38:39], v[2:3]
	v_add_f64_e32 v[0:1], v[0:1], v[4:5]
	v_fma_f64 v[82:83], v[36:37], s[0:1], v[18:19]
	v_fma_f64 v[84:85], v[44:45], s[2:3], v[48:49]
	;; [unrolled: 1-line block ×8, first 2 shown]
	v_fma_f64 v[54:55], v[54:55], -0.5, v[74:75]
	v_fma_f64 v[56:57], v[56:57], -0.5, v[74:75]
	;; [unrolled: 1-line block ×4, first 2 shown]
	v_add_f64_e32 v[2:3], v[2:3], v[8:9]
	v_add_f64_e32 v[0:1], v[0:1], v[6:7]
	v_fma_f64 v[70:71], v[44:45], s[10:11], v[82:83]
	v_fma_f64 v[72:73], v[36:37], s[10:11], v[84:85]
	;; [unrolled: 1-line block ×8, first 2 shown]
	v_add_f64_e64 v[44:45], v[10:11], -v[14:15]
	v_add_f64_e64 v[48:49], v[42:43], -v[26:27]
	;; [unrolled: 1-line block ×6, first 2 shown]
	v_add_f64_e32 v[14:15], v[90:91], v[14:15]
	v_add_f64_e32 v[24:25], v[92:93], v[24:25]
	v_fma_f64 v[4:5], v[16:17], s[2:3], v[54:55]
	v_fma_f64 v[38:39], v[16:17], s[0:1], v[54:55]
	;; [unrolled: 1-line block ×8, first 2 shown]
	v_add_f64_e32 v[12:13], v[2:3], v[12:13]
	v_add_f64_e32 v[40:41], v[0:1], v[40:41]
	v_fma_f64 v[70:71], v[66:67], s[12:13], v[70:71]
	v_fma_f64 v[72:73], v[68:69], s[12:13], v[72:73]
	;; [unrolled: 1-line block ×8, first 2 shown]
	v_add_f64_e32 v[44:45], v[44:45], v[48:49]
	v_add_f64_e32 v[10:11], v[10:11], v[50:51]
	;; [unrolled: 1-line block ×6, first 2 shown]
	v_fma_f64 v[4:5], v[46:47], s[6:7], v[4:5]
	v_fma_f64 v[6:7], v[46:47], s[10:11], v[38:39]
	;; [unrolled: 1-line block ×8, first 2 shown]
	v_mul_f64_e32 v[50:51], s[6:7], v[70:71]
	v_mul_f64_e32 v[52:53], s[2:3], v[72:73]
	;; [unrolled: 1-line block ×8, first 2 shown]
	v_add_f64_e32 v[14:15], v[14:15], v[42:43]
	v_add_f64_e32 v[22:23], v[24:25], v[22:23]
	v_fma_f64 v[42:43], v[44:45], s[12:13], v[4:5]
	v_fma_f64 v[44:45], v[44:45], s[12:13], v[6:7]
	;; [unrolled: 1-line block ×10, first 2 shown]
	v_fma_f64 v[36:37], v[36:37], s[2:3], -v[54:55]
	v_fma_f64 v[50:51], v[18:19], s[6:7], -v[56:57]
	v_fma_f64 v[52:53], v[70:71], s[14:15], v[58:59]
	v_fma_f64 v[54:55], v[72:73], s[12:13], v[60:61]
	v_fma_f64 v[56:57], v[74:75], s[0:1], -v[62:63]
	v_fma_f64 v[58:59], v[76:77], s[10:11], -v[64:65]
	v_cmp_gt_u32_e64 s0, 0x64, v100
	v_add_f64_e32 v[0:1], v[14:15], v[12:13]
	v_add_f64_e32 v[2:3], v[22:23], v[40:41]
	v_add_f64_e64 v[24:25], v[14:15], -v[12:13]
	v_add_f64_e64 v[26:27], v[22:23], -v[40:41]
	v_add_f64_e32 v[16:17], v[42:43], v[8:9]
	v_add_f64_e32 v[4:5], v[66:67], v[34:35]
	;; [unrolled: 1-line block ×8, first 2 shown]
	v_add_f64_e64 v[8:9], v[42:43], -v[8:9]
	v_add_f64_e64 v[12:13], v[66:67], -v[34:35]
	;; [unrolled: 1-line block ×8, first 2 shown]
	ds_store_b128 v32, v[0:3]
	ds_store_b128 v32, v[16:19] offset:160
	ds_store_b128 v32, v[4:7] offset:320
	;; [unrolled: 1-line block ×9, first 2 shown]
	global_wb scope:SCOPE_SE
	s_wait_dscnt 0x0
	s_barrier_signal -1
	s_barrier_wait -1
	global_inv scope:SCOPE_SE
                                        ; implicit-def: $vgpr50_vgpr51
                                        ; implicit-def: $vgpr34_vgpr35
                                        ; implicit-def: $vgpr46_vgpr47
	s_and_saveexec_b32 s1, s0
	s_cbranch_execz .LBB0_13
; %bb.12:
	ds_load_b128 v[0:3], v104
	ds_load_b128 v[16:19], v104 offset:1600
	ds_load_b128 v[4:7], v104 offset:3200
	;; [unrolled: 1-line block ×12, first 2 shown]
.LBB0_13:
	s_wait_alu 0xfffe
	s_or_b32 exec_lo, exec_lo, s1
	global_wb scope:SCOPE_SE
	s_wait_dscnt 0x0
	s_barrier_signal -1
	s_barrier_wait -1
	global_inv scope:SCOPE_SE
	s_and_saveexec_b32 s33, s0
	s_cbranch_execz .LBB0_15
; %bb.14:
	v_dual_mov_b32 v53, 0 :: v_dual_add_nc_u32 v52, 0xffffff9c, v100
	s_mov_b32 s14, 0xb2365da1
	s_mov_b32 s16, 0x2ef20147
	s_mov_b32 s10, 0x1ea71119
	s_delay_alu instid0(VALU_DEP_1)
	v_cndmask_b32_e64 v52, v52, v100, s0
	s_mov_b32 s6, 0xd0032e0c
	s_mov_b32 s2, 0x93053d00
	s_mov_b32 s12, 0xe00740e9
	s_mov_b32 s28, 0x24c2f84
	v_mul_i32_i24_e32 v52, 12, v52
	s_mov_b32 s22, 0x4bc48dbf
	s_mov_b32 s15, 0xbfd6b1d8
	;; [unrolled: 1-line block ×4, first 2 shown]
	v_lshlrev_b64_e32 v[52:53], 4, v[52:53]
	s_mov_b32 s7, 0xbfe7f3cc
	s_mov_b32 s3, 0xbfef11f4
	;; [unrolled: 1-line block ×5, first 2 shown]
	v_add_co_u32 v52, s0, s4, v52
	s_wait_alu 0xf1ff
	v_add_co_ci_u32_e64 v53, s0, s5, v53, s0
	s_mov_b32 s0, 0xebaa3ed8
	s_mov_b32 s1, 0x3fbedb7d
	;; [unrolled: 1-line block ×3, first 2 shown]
	s_clause 0x6
	global_load_b128 v[76:79], v[52:53], off offset:1440
	global_load_b128 v[80:83], v[52:53], off offset:1616
	;; [unrolled: 1-line block ×7, first 2 shown]
	scratch_store_b64 off, v[98:99], off    ; 8-byte Folded Spill
	s_clause 0x4
	global_load_b128 v[96:99], v[52:53], off offset:1584
	global_load_b128 v[92:95], v[52:53], off offset:1568
	;; [unrolled: 1-line block ×5, first 2 shown]
	s_mov_b32 s35, 0xbfe5384d
	s_mov_b32 s25, 0xbfcea1e5
	;; [unrolled: 1-line block ×4, first 2 shown]
	s_wait_alu 0xfffe
	s_mov_b32 s24, s22
	s_mov_b32 s18, 0x66966769
	;; [unrolled: 1-line block ×10, first 2 shown]
	s_wait_alu 0xfffe
	s_mov_b32 s40, s18
	s_mov_b32 s36, s30
	;; [unrolled: 1-line block ×3, first 2 shown]
	s_wait_loadcnt 0xb
	v_mul_f64_e32 v[105:106], v[16:17], v[78:79]
	s_wait_loadcnt 0xa
	v_mul_f64_e32 v[107:108], v[48:49], v[82:83]
	;; [unrolled: 2-line block ×3, first 2 shown]
	v_mul_f64_e32 v[78:79], v[18:19], v[78:79]
	s_wait_loadcnt 0x4
	v_mul_f64_e32 v[119:120], v[44:45], v[98:99]
	v_mul_f64_e32 v[111:112], v[28:29], v[70:71]
	;; [unrolled: 1-line block ×5, first 2 shown]
	s_wait_loadcnt 0x3
	v_mul_f64_e32 v[121:122], v[40:41], v[94:95]
	s_wait_loadcnt 0x2
	v_mul_f64_e32 v[123:124], v[36:37], v[90:91]
	v_mul_f64_e32 v[82:83], v[50:51], v[82:83]
	;; [unrolled: 1-line block ×10, first 2 shown]
	v_fma_f64 v[105:106], v[18:19], v[76:77], v[105:106]
	v_fma_f64 v[18:19], v[50:51], v[80:81], v[107:108]
	;; [unrolled: 1-line block ×3, first 2 shown]
	s_wait_loadcnt 0x0
	v_mul_f64_e32 v[107:108], v[12:13], v[54:55]
	v_fma_f64 v[26:27], v[46:47], v[96:97], v[119:120]
	v_mul_f64_e32 v[46:47], v[8:9], v[58:59]
	v_mul_f64_e32 v[58:59], v[10:11], v[58:59]
	;; [unrolled: 1-line block ×3, first 2 shown]
	v_fma_f64 v[76:77], v[16:17], v[76:77], -v[78:79]
	v_fma_f64 v[62:63], v[30:31], v[68:69], v[111:112]
	v_fma_f64 v[66:67], v[22:23], v[84:85], v[113:114]
	;; [unrolled: 1-line block ×6, first 2 shown]
	v_fma_f64 v[78:79], v[48:49], v[80:81], -v[82:83]
	v_fma_f64 v[38:39], v[24:25], v[72:73], -v[74:75]
	;; [unrolled: 1-line block ×9, first 2 shown]
	v_add_f64_e32 v[44:45], v[105:106], v[18:19]
	v_add_f64_e64 v[48:49], v[105:106], -v[18:19]
	v_fma_f64 v[36:37], v[10:11], v[56:57], v[46:47]
	v_fma_f64 v[32:33], v[8:9], v[56:57], -v[58:59]
	v_fma_f64 v[10:11], v[14:15], v[52:53], v[107:108]
	v_fma_f64 v[8:9], v[12:13], v[52:53], -v[54:55]
	v_add_f64_e32 v[46:47], v[2:3], v[105:106]
	v_add_f64_e32 v[52:53], v[0:1], v[76:77]
	;; [unrolled: 1-line block ×6, first 2 shown]
	scratch_store_b64 off, v[78:79], off offset:8 ; 8-byte Folded Spill
	v_add_f64_e64 v[12:13], v[76:77], -v[78:79]
	v_add_f64_e32 v[14:15], v[76:77], v[78:79]
	v_add_f64_e64 v[76:77], v[70:71], -v[22:23]
	v_add_f64_e64 v[80:81], v[66:67], -v[26:27]
	;; [unrolled: 1-line block ×4, first 2 shown]
	v_add_f64_e32 v[78:79], v[40:41], v[6:7]
	v_add_f64_e64 v[56:57], v[28:29], -v[20:21]
	v_add_f64_e32 v[86:87], v[28:29], v[20:21]
	v_add_f64_e64 v[54:55], v[42:43], -v[16:17]
	;; [unrolled: 2-line block ×3, first 2 shown]
	v_mul_f64_e32 v[88:89], s[2:3], v[44:45]
	v_mul_f64_e32 v[90:91], s[6:7], v[44:45]
	;; [unrolled: 1-line block ×8, first 2 shown]
	v_add_f64_e32 v[46:47], v[46:47], v[70:71]
	v_add_f64_e32 v[40:41], v[52:53], v[40:41]
	v_mul_f64_e32 v[107:108], s[38:39], v[48:49]
	v_mul_f64_e32 v[109:110], s[18:19], v[48:49]
	;; [unrolled: 1-line block ×28, first 2 shown]
	s_wait_alu 0xfffe
	v_mul_f64_e32 v[52:53], s[26:27], v[76:77]
	v_mul_f64_e32 v[70:71], s[40:41], v[76:77]
	;; [unrolled: 1-line block ×8, first 2 shown]
	v_add_f64_e32 v[46:47], v[46:47], v[66:67]
	v_add_f64_e32 v[40:41], v[40:41], v[42:43]
	v_mul_f64_e32 v[163:164], s[26:27], v[80:81]
	v_mul_f64_e32 v[165:166], s[16:17], v[80:81]
	v_mul_f64_e32 v[167:168], s[24:25], v[80:81]
	v_mul_f64_e32 v[80:81], s[18:19], v[80:81]
	v_fma_f64 v[175:176], v[12:13], s[22:23], v[88:89]
	v_fma_f64 v[88:89], v[12:13], s[24:25], v[88:89]
	;; [unrolled: 1-line block ×13, first 2 shown]
	v_fma_f64 v[98:99], v[14:15], s[2:3], -v[98:99]
	v_fma_f64 v[187:188], v[14:15], s[6:7], v[105:106]
	v_fma_f64 v[105:106], v[14:15], s[6:7], -v[105:106]
	v_fma_f64 v[189:190], v[14:15], s[14:15], v[107:108]
	v_mul_f64_e32 v[169:170], s[36:37], v[84:85]
	v_mul_f64_e32 v[171:172], s[22:23], v[84:85]
	;; [unrolled: 1-line block ×3, first 2 shown]
	v_fma_f64 v[107:108], v[14:15], s[14:15], -v[107:108]
	v_fma_f64 v[191:192], v[14:15], s[0:1], v[109:110]
	v_fma_f64 v[109:110], v[14:15], s[0:1], -v[109:110]
	v_fma_f64 v[193:194], v[14:15], s[10:11], v[111:112]
	;; [unrolled: 2-line block ×4, first 2 shown]
	v_fma_f64 v[197:198], v[56:57], s[30:31], v[117:118]
	v_fma_f64 v[199:200], v[58:59], s[16:17], v[119:120]
	;; [unrolled: 1-line block ×4, first 2 shown]
	v_add_f64_e32 v[46:47], v[46:47], v[62:63]
	v_add_f64_e32 v[28:29], v[40:41], v[28:29]
	v_fma_f64 v[119:120], v[58:59], s[38:39], v[119:120]
	v_fma_f64 v[201:202], v[54:55], s[36:37], v[123:124]
	;; [unrolled: 1-line block ×36, first 2 shown]
	v_add_f64_e32 v[46:47], v[46:47], v[50:51]
	v_add_f64_e32 v[28:29], v[28:29], v[38:39]
	v_fma_f64 v[147:148], v[74:75], s[28:29], v[147:148]
	v_fma_f64 v[229:230], v[74:75], s[22:23], v[149:150]
	v_fma_f64 v[149:150], v[74:75], s[24:25], v[149:150]
	v_fma_f64 v[42:43], v[74:75], s[16:17], v[151:152]
	v_fma_f64 v[151:152], v[74:75], s[38:39], v[151:152]
	v_fma_f64 v[231:232], v[74:75], s[36:37], v[60:61]
	v_fma_f64 v[60:61], v[74:75], s[30:31], v[60:61]
	v_fma_f64 v[74:75], v[78:79], s[12:13], v[52:53]
	v_fma_f64 v[52:53], v[78:79], s[12:13], -v[52:53]
	v_fma_f64 v[233:234], v[78:79], s[0:1], v[70:71]
	v_fma_f64 v[70:71], v[78:79], s[0:1], -v[70:71]
	v_fma_f64 v[235:236], v[78:79], s[6:7], v[153:154]
	;; [unrolled: 2-line block ×11, first 2 shown]
	v_fma_f64 v[80:81], v[82:83], s[0:1], -v[80:81]
	v_mul_f64_e32 v[82:83], s[26:27], v[84:85]
	v_mul_f64_e32 v[62:63], s[28:29], v[84:85]
	;; [unrolled: 1-line block ×3, first 2 shown]
	v_add_f64_e32 v[175:176], v[2:3], v[175:176]
	v_add_f64_e32 v[44:45], v[0:1], v[44:45]
	;; [unrolled: 1-line block ×13, first 2 shown]
	v_add_f64_e64 v[50:51], v[50:51], -v[34:35]
	v_add_f64_e32 v[28:29], v[28:29], v[32:33]
	v_fma_f64 v[40:41], v[86:87], s[10:11], v[169:170]
	v_fma_f64 v[169:170], v[86:87], s[10:11], -v[169:170]
	v_add_f64_e32 v[107:108], v[0:1], v[107:108]
	v_add_f64_e32 v[181:182], v[2:3], v[181:182]
	;; [unrolled: 1-line block ×12, first 2 shown]
	v_fma_f64 v[12:13], v[86:87], s[2:3], v[171:172]
	v_fma_f64 v[14:15], v[86:87], s[2:3], -v[171:172]
	v_fma_f64 v[171:172], v[86:87], s[0:1], v[173:174]
	v_fma_f64 v[173:174], v[86:87], s[0:1], -v[173:174]
	v_add_f64_e32 v[38:39], v[38:39], v[24:25]
	v_fma_f64 v[253:254], v[86:87], s[12:13], v[82:83]
	v_fma_f64 v[82:83], v[86:87], s[12:13], -v[82:83]
	v_fma_f64 v[101:102], v[86:87], s[6:7], v[62:63]
	v_fma_f64 v[62:63], v[86:87], s[6:7], -v[62:63]
	;; [unrolled: 2-line block ×3, first 2 shown]
	v_add_f64_e32 v[64:65], v[64:65], v[175:176]
	v_add_f64_e32 v[44:45], v[74:75], v[44:45]
	;; [unrolled: 1-line block ×4, first 2 shown]
	v_add_f64_e64 v[36:37], v[36:37], -v[10:11]
	v_add_f64_e32 v[52:53], v[52:53], v[98:99]
	v_add_f64_e64 v[86:87], v[32:33], -v[8:9]
	v_add_f64_e32 v[32:33], v[32:33], v[8:9]
	v_add_f64_e32 v[88:89], v[113:114], v[177:178]
	;; [unrolled: 1-line block ×3, first 2 shown]
	v_mul_f64_e32 v[46:47], s[38:39], v[50:51]
	v_add_f64_e32 v[8:9], v[28:29], v[8:9]
	v_mul_f64_e32 v[28:29], s[26:27], v[50:51]
	v_mul_f64_e32 v[98:99], s[22:23], v[50:51]
	v_add_f64_e32 v[113:114], v[233:234], v[187:188]
	v_mul_f64_e32 v[175:176], s[30:31], v[50:51]
	v_add_f64_e32 v[90:91], v[121:122], v[90:91]
	v_mul_f64_e32 v[121:122], s[40:41], v[50:51]
	v_mul_f64_e32 v[50:51], s[34:35], v[50:51]
	v_add_f64_e32 v[70:71], v[70:71], v[105:106]
	v_add_f64_e32 v[177:178], v[227:228], v[179:180]
	;; [unrolled: 1-line block ×18, first 2 shown]
	v_mul_f64_e32 v[105:106], s[0:1], v[74:75]
	v_mul_f64_e32 v[189:190], s[14:15], v[74:75]
	v_add_f64_e32 v[52:53], v[159:160], v[52:53]
	v_mul_f64_e32 v[147:148], s[38:39], v[36:37]
	v_mul_f64_e32 v[153:154], s[10:11], v[74:75]
	v_add_f64_e32 v[64:65], v[201:202], v[88:89]
	v_add_f64_e32 v[10:11], v[10:11], v[34:35]
	v_fma_f64 v[34:35], v[38:39], s[14:15], v[46:47]
	v_add_f64_e32 v[8:9], v[8:9], v[24:25]
	v_add_f64_e32 v[24:25], v[241:242], v[195:196]
	v_fma_f64 v[46:47], v[38:39], s[14:15], -v[46:47]
	v_fma_f64 v[60:61], v[38:39], s[12:13], v[28:29]
	v_fma_f64 v[28:29], v[38:39], s[12:13], -v[28:29]
	v_fma_f64 v[76:77], v[38:39], s[2:3], v[98:99]
	v_fma_f64 v[98:99], v[38:39], s[2:3], -v[98:99]
	v_fma_f64 v[193:194], v[38:39], s[10:11], v[175:176]
	v_fma_f64 v[175:176], v[38:39], s[10:11], -v[175:176]
	v_fma_f64 v[195:196], v[38:39], s[0:1], v[121:122]
	v_fma_f64 v[121:122], v[38:39], s[0:1], -v[121:122]
	v_fma_f64 v[229:230], v[38:39], s[6:7], v[50:51]
	v_fma_f64 v[38:39], v[38:39], s[6:7], -v[50:51]
	v_add_f64_e32 v[50:51], v[115:116], v[66:67]
	v_add_f64_e32 v[66:67], v[243:244], v[113:114]
	;; [unrolled: 1-line block ×8, first 2 shown]
	v_mul_f64_e32 v[227:228], s[6:7], v[74:75]
	v_mul_f64_e32 v[149:150], s[12:13], v[74:75]
	;; [unrolled: 1-line block ×4, first 2 shown]
	v_add_f64_e32 v[107:108], v[163:164], v[107:108]
	v_add_f64_e32 v[2:3], v[54:55], v[2:3]
	;; [unrolled: 1-line block ×7, first 2 shown]
	v_fma_f64 v[54:55], v[86:87], s[40:41], v[105:106]
	v_fma_f64 v[141:142], v[32:33], s[14:15], v[147:148]
	;; [unrolled: 1-line block ×3, first 2 shown]
	v_fma_f64 v[145:146], v[32:33], s[14:15], -v[147:148]
	v_add_f64_e32 v[10:11], v[10:11], v[30:31]
	v_fma_f64 v[147:148], v[86:87], s[30:31], v[153:154]
	v_add_f64_e32 v[8:9], v[8:9], v[20:21]
	v_add_f64_e32 v[20:21], v[251:252], v[24:25]
	v_fma_f64 v[24:25], v[86:87], s[18:19], v[105:106]
	v_fma_f64 v[105:106], v[86:87], s[16:17], v[189:190]
	;; [unrolled: 1-line block ×3, first 2 shown]
	v_add_f64_e32 v[96:97], v[167:168], v[111:112]
	v_add_f64_e32 v[109:110], v[165:166], v[109:110]
	;; [unrolled: 1-line block ×6, first 2 shown]
	v_mul_f64_e32 v[179:180], s[40:41], v[36:37]
	v_mul_f64_e32 v[157:158], s[34:35], v[36:37]
	v_add_f64_e32 v[44:45], v[117:118], v[50:51]
	v_add_f64_e32 v[50:51], v[169:170], v[52:53]
	;; [unrolled: 1-line block ×8, first 2 shown]
	v_fma_f64 v[159:160], v[86:87], s[28:29], v[227:228]
	v_fma_f64 v[161:162], v[86:87], s[34:35], v[227:228]
	v_add_f64_e32 v[52:53], v[203:204], v[64:65]
	v_add_f64_e32 v[64:65], v[125:126], v[78:79]
	;; [unrolled: 1-line block ×5, first 2 shown]
	v_fma_f64 v[56:57], v[86:87], s[26:27], v[149:150]
	v_fma_f64 v[84:85], v[86:87], s[22:23], v[74:75]
	;; [unrolled: 1-line block ×3, first 2 shown]
	v_mul_f64_e32 v[155:156], s[26:27], v[36:37]
	v_mul_f64_e32 v[36:37], s[24:25], v[36:37]
	v_add_f64_e32 v[78:79], v[139:140], v[94:95]
	v_add_f64_e32 v[72:73], v[137:138], v[92:93]
	;; [unrolled: 1-line block ×6, first 2 shown]
	v_fma_f64 v[16:17], v[86:87], s[20:21], v[149:150]
	v_fma_f64 v[86:87], v[32:33], s[10:11], v[151:152]
	v_add_f64_e32 v[20:21], v[199:200], v[48:49]
	v_add_f64_e32 v[62:63], v[62:63], v[96:97]
	;; [unrolled: 1-line block ×7, first 2 shown]
	v_fma_f64 v[30:31], v[32:33], s[0:1], v[179:180]
	v_fma_f64 v[80:81], v[32:33], s[0:1], -v[179:180]
	v_fma_f64 v[101:102], v[32:33], s[10:11], -v[151:152]
	v_add_f64_e32 v[34:35], v[46:47], v[50:51]
	v_add_f64_e32 v[12:13], v[60:61], v[12:13]
	v_fma_f64 v[107:108], v[32:33], s[6:7], v[157:158]
	v_fma_f64 v[109:110], v[32:33], s[6:7], -v[157:158]
	v_add_f64_e32 v[46:47], v[76:77], v[68:69]
	v_add_f64_e32 v[48:49], v[129:130], v[70:71]
	;; [unrolled: 1-line block ×6, first 2 shown]
	scratch_load_b64 v[98:99], off, off     ; 8-byte Folded Reload
	v_add_f64_e32 v[58:59], v[58:59], v[2:3]
	v_fma_f64 v[113:114], v[32:33], s[12:13], -v[155:156]
	v_fma_f64 v[115:116], v[32:33], s[2:3], v[36:37]
	v_fma_f64 v[117:118], v[32:33], s[2:3], -v[36:37]
	v_add_f64_e32 v[36:37], v[205:206], v[52:53]
	v_add_f64_e32 v[52:53], v[133:134], v[78:79]
	v_fma_f64 v[111:112], v[32:33], s[12:13], v[155:156]
	v_add_f64_e32 v[32:33], v[119:120], v[44:45]
	v_add_f64_e32 v[50:51], v[131:132], v[72:73]
	;; [unrolled: 1-line block ×20, first 2 shown]
	scratch_load_b64 v[16:17], off, off offset:8 th:TH_LOAD_LU ; 8-byte Folded Reload
	v_add_f64_e32 v[20:21], v[145:146], v[28:29]
	v_add_f64_e32 v[22:23], v[143:144], v[40:41]
	;; [unrolled: 1-line block ×18, first 2 shown]
	s_wait_loadcnt 0x0
	v_add_f64_e32 v[16:17], v[6:7], v[16:17]
	ds_store_b128 v104, v[36:39] offset:3200
	ds_store_b128 v104, v[32:35] offset:4800
	;; [unrolled: 1-line block ×11, first 2 shown]
	ds_store_b128 v104, v[16:19]
	ds_store_b128 v104, v[48:51] offset:19200
.LBB0_15:
	s_or_b32 exec_lo, exec_lo, s33
	global_wb scope:SCOPE_SE
	s_wait_storecnt_dscnt 0x0
	s_barrier_signal -1
	s_barrier_wait -1
	global_inv scope:SCOPE_SE
	ds_load_b128 v[4:7], v104
	v_lshlrev_b32_e32 v0, 4, v100
	s_mov_b32 s1, exec_lo
                                        ; implicit-def: $vgpr8_vgpr9
                                        ; implicit-def: $vgpr10_vgpr11
                                        ; implicit-def: $vgpr12_vgpr13
	s_delay_alu instid0(VALU_DEP_1)
	v_sub_nc_u32_e32 v14, 0, v0
                                        ; implicit-def: $vgpr0_vgpr1
	v_cmpx_ne_u32_e32 0, v100
	s_wait_alu 0xfffe
	s_xor_b32 s1, exec_lo, s1
	s_cbranch_execz .LBB0_17
; %bb.16:
	v_mov_b32_e32 v101, 0
	s_delay_alu instid0(VALU_DEP_1) | instskip(NEXT) | instid1(VALU_DEP_1)
	v_lshlrev_b64_e32 v[0:1], 4, v[100:101]
	v_add_co_u32 v0, s0, s4, v0
	s_wait_alu 0xf1ff
	s_delay_alu instid0(VALU_DEP_2)
	v_add_co_ci_u32_e64 v1, s0, s5, v1, s0
	global_load_b128 v[15:18], v[0:1], off offset:20640
	ds_load_b128 v[0:3], v14 offset:20800
	s_wait_dscnt 0x0
	v_add_f64_e64 v[8:9], v[4:5], -v[0:1]
	v_add_f64_e32 v[10:11], v[6:7], v[2:3]
	v_add_f64_e64 v[2:3], v[6:7], -v[2:3]
	v_add_f64_e32 v[0:1], v[4:5], v[0:1]
	s_delay_alu instid0(VALU_DEP_4) | instskip(NEXT) | instid1(VALU_DEP_4)
	v_mul_f64_e32 v[6:7], 0.5, v[8:9]
	v_mul_f64_e32 v[4:5], 0.5, v[10:11]
	s_delay_alu instid0(VALU_DEP_4) | instskip(SKIP_1) | instid1(VALU_DEP_3)
	v_mul_f64_e32 v[2:3], 0.5, v[2:3]
	s_wait_loadcnt 0x0
	v_mul_f64_e32 v[8:9], v[6:7], v[17:18]
	s_delay_alu instid0(VALU_DEP_2) | instskip(SKIP_1) | instid1(VALU_DEP_3)
	v_fma_f64 v[10:11], v[4:5], v[17:18], v[2:3]
	v_fma_f64 v[2:3], v[4:5], v[17:18], -v[2:3]
	v_fma_f64 v[12:13], v[0:1], 0.5, v[8:9]
	v_fma_f64 v[0:1], v[0:1], 0.5, -v[8:9]
	s_delay_alu instid0(VALU_DEP_4) | instskip(NEXT) | instid1(VALU_DEP_4)
	v_fma_f64 v[10:11], -v[15:16], v[6:7], v[10:11]
	v_fma_f64 v[2:3], -v[15:16], v[6:7], v[2:3]
	s_delay_alu instid0(VALU_DEP_4) | instskip(NEXT) | instid1(VALU_DEP_4)
	v_fma_f64 v[8:9], v[4:5], v[15:16], v[12:13]
	v_fma_f64 v[0:1], -v[4:5], v[15:16], v[0:1]
	v_dual_mov_b32 v12, v100 :: v_dual_mov_b32 v13, v101
                                        ; implicit-def: $vgpr4_vgpr5
.LBB0_17:
	s_wait_alu 0xfffe
	s_and_not1_saveexec_b32 s0, s1
	s_cbranch_execz .LBB0_19
; %bb.18:
	s_wait_dscnt 0x0
	v_add_f64_e32 v[8:9], v[4:5], v[6:7]
	v_add_f64_e64 v[0:1], v[4:5], -v[6:7]
	v_mov_b32_e32 v6, 0
	v_mov_b32_e32 v10, 0
	v_dual_mov_b32 v11, 0 :: v_dual_mov_b32 v12, 0
	s_delay_alu instid0(VALU_DEP_2)
	v_mov_b32_e32 v2, v10
	ds_load_b64 v[4:5], v6 offset:10408
	v_mov_b32_e32 v13, 0
	v_mov_b32_e32 v3, v11
	s_wait_dscnt 0x0
	v_xor_b32_e32 v5, 0x80000000, v5
	ds_store_b64 v6, v[4:5] offset:10408
.LBB0_19:
	s_wait_alu 0xfffe
	s_or_b32 exec_lo, exec_lo, s0
	s_wait_dscnt 0x0
	v_lshlrev_b64_e32 v[4:5], 4, v[12:13]
	s_add_nc_u64 s[0:1], s[4:5], 0x50a0
	s_wait_alu 0xfffe
	s_delay_alu instid0(VALU_DEP_1) | instskip(SKIP_1) | instid1(VALU_DEP_2)
	v_add_co_u32 v23, s0, s0, v4
	s_wait_alu 0xf1ff
	v_add_co_ci_u32_e64 v24, s0, s1, v5, s0
	s_clause 0x1
	global_load_b128 v[15:18], v[23:24], off offset:2080
	global_load_b128 v[19:22], v[23:24], off offset:4160
	ds_store_2addr_b64 v104, v[8:9], v[10:11] offset1:1
	ds_store_b128 v14, v[0:3] offset:20800
	ds_load_b128 v[0:3], v104 offset:2080
	ds_load_b128 v[6:9], v14 offset:18720
	s_wait_dscnt 0x0
	v_add_f64_e64 v[10:11], v[0:1], -v[6:7]
	v_add_f64_e32 v[12:13], v[2:3], v[8:9]
	v_add_f64_e64 v[2:3], v[2:3], -v[8:9]
	v_add_f64_e32 v[0:1], v[0:1], v[6:7]
	s_delay_alu instid0(VALU_DEP_4) | instskip(NEXT) | instid1(VALU_DEP_4)
	v_mul_f64_e32 v[8:9], 0.5, v[10:11]
	v_mul_f64_e32 v[10:11], 0.5, v[12:13]
	s_delay_alu instid0(VALU_DEP_4) | instskip(SKIP_1) | instid1(VALU_DEP_3)
	v_mul_f64_e32 v[2:3], 0.5, v[2:3]
	s_wait_loadcnt 0x1
	v_mul_f64_e32 v[6:7], v[8:9], v[17:18]
	s_delay_alu instid0(VALU_DEP_2) | instskip(SKIP_1) | instid1(VALU_DEP_3)
	v_fma_f64 v[12:13], v[10:11], v[17:18], v[2:3]
	v_fma_f64 v[2:3], v[10:11], v[17:18], -v[2:3]
	v_fma_f64 v[17:18], v[0:1], 0.5, v[6:7]
	v_fma_f64 v[0:1], v[0:1], 0.5, -v[6:7]
	s_delay_alu instid0(VALU_DEP_4) | instskip(NEXT) | instid1(VALU_DEP_4)
	v_fma_f64 v[12:13], -v[15:16], v[8:9], v[12:13]
	v_fma_f64 v[2:3], -v[15:16], v[8:9], v[2:3]
	global_load_b128 v[6:9], v[23:24], off offset:6240
	v_fma_f64 v[17:18], v[10:11], v[15:16], v[17:18]
	v_fma_f64 v[0:1], -v[10:11], v[15:16], v[0:1]
	v_add_nc_u32_e32 v10, 0x800, v104
	ds_store_2addr_b64 v10, v[17:18], v[12:13] offset0:4 offset1:5
	ds_store_b128 v14, v[0:3] offset:18720
	ds_load_b128 v[0:3], v104 offset:4160
	ds_load_b128 v[10:13], v14 offset:16640
	s_wait_dscnt 0x0
	v_add_f64_e64 v[15:16], v[0:1], -v[10:11]
	v_add_f64_e32 v[17:18], v[2:3], v[12:13]
	v_add_f64_e64 v[2:3], v[2:3], -v[12:13]
	v_add_f64_e32 v[0:1], v[0:1], v[10:11]
	s_delay_alu instid0(VALU_DEP_4) | instskip(NEXT) | instid1(VALU_DEP_4)
	v_mul_f64_e32 v[12:13], 0.5, v[15:16]
	v_mul_f64_e32 v[15:16], 0.5, v[17:18]
	s_delay_alu instid0(VALU_DEP_4) | instskip(SKIP_1) | instid1(VALU_DEP_3)
	v_mul_f64_e32 v[2:3], 0.5, v[2:3]
	s_wait_loadcnt 0x1
	v_mul_f64_e32 v[10:11], v[12:13], v[21:22]
	s_delay_alu instid0(VALU_DEP_2) | instskip(SKIP_1) | instid1(VALU_DEP_3)
	v_fma_f64 v[17:18], v[15:16], v[21:22], v[2:3]
	v_fma_f64 v[2:3], v[15:16], v[21:22], -v[2:3]
	v_fma_f64 v[21:22], v[0:1], 0.5, v[10:11]
	v_fma_f64 v[0:1], v[0:1], 0.5, -v[10:11]
	s_delay_alu instid0(VALU_DEP_4) | instskip(NEXT) | instid1(VALU_DEP_4)
	v_fma_f64 v[17:18], -v[19:20], v[12:13], v[17:18]
	v_fma_f64 v[2:3], -v[19:20], v[12:13], v[2:3]
	global_load_b128 v[10:13], v[23:24], off offset:8320
	v_fma_f64 v[21:22], v[15:16], v[19:20], v[21:22]
	v_fma_f64 v[0:1], -v[15:16], v[19:20], v[0:1]
	v_add_nc_u32_e32 v15, 0x1000, v104
	ds_store_2addr_b64 v15, v[21:22], v[17:18] offset0:8 offset1:9
	ds_store_b128 v14, v[0:3] offset:16640
	ds_load_b128 v[0:3], v104 offset:6240
	ds_load_b128 v[15:18], v14 offset:14560
	s_wait_dscnt 0x0
	v_add_f64_e64 v[19:20], v[0:1], -v[15:16]
	v_add_f64_e32 v[21:22], v[2:3], v[17:18]
	v_add_f64_e64 v[2:3], v[2:3], -v[17:18]
	v_add_f64_e32 v[0:1], v[0:1], v[15:16]
	s_delay_alu instid0(VALU_DEP_4) | instskip(NEXT) | instid1(VALU_DEP_4)
	v_mul_f64_e32 v[17:18], 0.5, v[19:20]
	v_mul_f64_e32 v[19:20], 0.5, v[21:22]
	s_delay_alu instid0(VALU_DEP_4) | instskip(SKIP_1) | instid1(VALU_DEP_3)
	v_mul_f64_e32 v[2:3], 0.5, v[2:3]
	s_wait_loadcnt 0x1
	v_mul_f64_e32 v[15:16], v[17:18], v[8:9]
	s_delay_alu instid0(VALU_DEP_2) | instskip(SKIP_1) | instid1(VALU_DEP_3)
	v_fma_f64 v[21:22], v[19:20], v[8:9], v[2:3]
	v_fma_f64 v[2:3], v[19:20], v[8:9], -v[2:3]
	v_fma_f64 v[8:9], v[0:1], 0.5, v[15:16]
	v_fma_f64 v[0:1], v[0:1], 0.5, -v[15:16]
	s_delay_alu instid0(VALU_DEP_4) | instskip(NEXT) | instid1(VALU_DEP_4)
	v_fma_f64 v[15:16], -v[6:7], v[17:18], v[21:22]
	v_fma_f64 v[2:3], -v[6:7], v[17:18], v[2:3]
	s_delay_alu instid0(VALU_DEP_4) | instskip(NEXT) | instid1(VALU_DEP_4)
	v_fma_f64 v[8:9], v[19:20], v[6:7], v[8:9]
	v_fma_f64 v[0:1], -v[19:20], v[6:7], v[0:1]
	v_add_nc_u32_e32 v6, 0x1800, v104
	ds_store_2addr_b64 v6, v[8:9], v[15:16] offset0:12 offset1:13
	ds_store_b128 v14, v[0:3] offset:14560
	ds_load_b128 v[0:3], v104 offset:8320
	ds_load_b128 v[6:9], v14 offset:12480
	s_wait_dscnt 0x0
	v_add_f64_e64 v[15:16], v[0:1], -v[6:7]
	v_add_f64_e32 v[17:18], v[2:3], v[8:9]
	v_add_f64_e64 v[2:3], v[2:3], -v[8:9]
	v_add_f64_e32 v[0:1], v[0:1], v[6:7]
	s_delay_alu instid0(VALU_DEP_4) | instskip(NEXT) | instid1(VALU_DEP_4)
	v_mul_f64_e32 v[8:9], 0.5, v[15:16]
	v_mul_f64_e32 v[15:16], 0.5, v[17:18]
	s_delay_alu instid0(VALU_DEP_4) | instskip(SKIP_1) | instid1(VALU_DEP_3)
	v_mul_f64_e32 v[2:3], 0.5, v[2:3]
	s_wait_loadcnt 0x0
	v_mul_f64_e32 v[6:7], v[8:9], v[12:13]
	s_delay_alu instid0(VALU_DEP_2) | instskip(SKIP_1) | instid1(VALU_DEP_3)
	v_fma_f64 v[17:18], v[15:16], v[12:13], v[2:3]
	v_fma_f64 v[2:3], v[15:16], v[12:13], -v[2:3]
	v_fma_f64 v[12:13], v[0:1], 0.5, v[6:7]
	v_fma_f64 v[0:1], v[0:1], 0.5, -v[6:7]
	s_delay_alu instid0(VALU_DEP_4) | instskip(NEXT) | instid1(VALU_DEP_4)
	v_fma_f64 v[6:7], -v[10:11], v[8:9], v[17:18]
	v_fma_f64 v[2:3], -v[10:11], v[8:9], v[2:3]
	s_delay_alu instid0(VALU_DEP_4) | instskip(NEXT) | instid1(VALU_DEP_4)
	v_fma_f64 v[8:9], v[15:16], v[10:11], v[12:13]
	v_fma_f64 v[0:1], -v[15:16], v[10:11], v[0:1]
	v_add_nc_u32_e32 v10, 0x2000, v104
	ds_store_2addr_b64 v10, v[8:9], v[6:7] offset0:16 offset1:17
	ds_store_b128 v14, v[0:3] offset:12480
	global_wb scope:SCOPE_SE
	s_wait_dscnt 0x0
	s_barrier_signal -1
	s_barrier_wait -1
	global_inv scope:SCOPE_SE
	s_and_saveexec_b32 s0, vcc_lo
	s_cbranch_execz .LBB0_22
; %bb.20:
	ds_load_b128 v[6:9], v104
	ds_load_b128 v[10:13], v104 offset:2080
	ds_load_b128 v[14:17], v104 offset:4160
	;; [unrolled: 1-line block ×9, first 2 shown]
	v_add_co_u32 v0, vcc_lo, s8, v98
	s_wait_alu 0xfffd
	v_add_co_ci_u32_e32 v1, vcc_lo, s9, v99, vcc_lo
	s_delay_alu instid0(VALU_DEP_2) | instskip(SKIP_1) | instid1(VALU_DEP_2)
	v_add_co_u32 v2, vcc_lo, v0, v4
	s_wait_alu 0xfffd
	v_add_co_ci_u32_e32 v3, vcc_lo, v1, v5, vcc_lo
	v_cmp_eq_u32_e32 vcc_lo, 0x81, v100
	s_wait_dscnt 0x9
	global_store_b128 v[2:3], v[6:9], off
	s_wait_dscnt 0x8
	global_store_b128 v[2:3], v[10:13], off offset:2080
	s_wait_dscnt 0x7
	global_store_b128 v[2:3], v[14:17], off offset:4160
	;; [unrolled: 2-line block ×9, first 2 shown]
	s_and_b32 exec_lo, exec_lo, vcc_lo
	s_cbranch_execz .LBB0_22
; %bb.21:
	v_mov_b32_e32 v2, 0
	ds_load_b128 v[2:5], v2 offset:20800
	s_wait_dscnt 0x0
	global_store_b128 v[0:1], v[2:5], off offset:20800
.LBB0_22:
	s_nop 0
	s_sendmsg sendmsg(MSG_DEALLOC_VGPRS)
	s_endpgm
	.section	.rodata,"a",@progbits
	.p2align	6, 0x0
	.amdhsa_kernel fft_rtc_fwd_len1300_factors_10_10_13_wgs_130_tpt_130_dp_ip_CI_unitstride_sbrr_R2C_dirReg
		.amdhsa_group_segment_fixed_size 0
		.amdhsa_private_segment_fixed_size 20
		.amdhsa_kernarg_size 88
		.amdhsa_user_sgpr_count 2
		.amdhsa_user_sgpr_dispatch_ptr 0
		.amdhsa_user_sgpr_queue_ptr 0
		.amdhsa_user_sgpr_kernarg_segment_ptr 1
		.amdhsa_user_sgpr_dispatch_id 0
		.amdhsa_user_sgpr_private_segment_size 0
		.amdhsa_wavefront_size32 1
		.amdhsa_uses_dynamic_stack 0
		.amdhsa_enable_private_segment 1
		.amdhsa_system_sgpr_workgroup_id_x 1
		.amdhsa_system_sgpr_workgroup_id_y 0
		.amdhsa_system_sgpr_workgroup_id_z 0
		.amdhsa_system_sgpr_workgroup_info 0
		.amdhsa_system_vgpr_workitem_id 0
		.amdhsa_next_free_vgpr 255
		.amdhsa_next_free_sgpr 42
		.amdhsa_reserve_vcc 1
		.amdhsa_float_round_mode_32 0
		.amdhsa_float_round_mode_16_64 0
		.amdhsa_float_denorm_mode_32 3
		.amdhsa_float_denorm_mode_16_64 3
		.amdhsa_fp16_overflow 0
		.amdhsa_workgroup_processor_mode 1
		.amdhsa_memory_ordered 1
		.amdhsa_forward_progress 0
		.amdhsa_round_robin_scheduling 0
		.amdhsa_exception_fp_ieee_invalid_op 0
		.amdhsa_exception_fp_denorm_src 0
		.amdhsa_exception_fp_ieee_div_zero 0
		.amdhsa_exception_fp_ieee_overflow 0
		.amdhsa_exception_fp_ieee_underflow 0
		.amdhsa_exception_fp_ieee_inexact 0
		.amdhsa_exception_int_div_zero 0
	.end_amdhsa_kernel
	.text
.Lfunc_end0:
	.size	fft_rtc_fwd_len1300_factors_10_10_13_wgs_130_tpt_130_dp_ip_CI_unitstride_sbrr_R2C_dirReg, .Lfunc_end0-fft_rtc_fwd_len1300_factors_10_10_13_wgs_130_tpt_130_dp_ip_CI_unitstride_sbrr_R2C_dirReg
                                        ; -- End function
	.section	.AMDGPU.csdata,"",@progbits
; Kernel info:
; codeLenInByte = 9548
; NumSgprs: 44
; NumVgprs: 255
; ScratchSize: 20
; MemoryBound: 0
; FloatMode: 240
; IeeeMode: 1
; LDSByteSize: 0 bytes/workgroup (compile time only)
; SGPRBlocks: 5
; VGPRBlocks: 31
; NumSGPRsForWavesPerEU: 44
; NumVGPRsForWavesPerEU: 255
; Occupancy: 5
; WaveLimiterHint : 1
; COMPUTE_PGM_RSRC2:SCRATCH_EN: 1
; COMPUTE_PGM_RSRC2:USER_SGPR: 2
; COMPUTE_PGM_RSRC2:TRAP_HANDLER: 0
; COMPUTE_PGM_RSRC2:TGID_X_EN: 1
; COMPUTE_PGM_RSRC2:TGID_Y_EN: 0
; COMPUTE_PGM_RSRC2:TGID_Z_EN: 0
; COMPUTE_PGM_RSRC2:TIDIG_COMP_CNT: 0
	.text
	.p2alignl 7, 3214868480
	.fill 96, 4, 3214868480
	.type	__hip_cuid_db952d67297f38fb,@object ; @__hip_cuid_db952d67297f38fb
	.section	.bss,"aw",@nobits
	.globl	__hip_cuid_db952d67297f38fb
__hip_cuid_db952d67297f38fb:
	.byte	0                               ; 0x0
	.size	__hip_cuid_db952d67297f38fb, 1

	.ident	"AMD clang version 19.0.0git (https://github.com/RadeonOpenCompute/llvm-project roc-6.4.0 25133 c7fe45cf4b819c5991fe208aaa96edf142730f1d)"
	.section	".note.GNU-stack","",@progbits
	.addrsig
	.addrsig_sym __hip_cuid_db952d67297f38fb
	.amdgpu_metadata
---
amdhsa.kernels:
  - .args:
      - .actual_access:  read_only
        .address_space:  global
        .offset:         0
        .size:           8
        .value_kind:     global_buffer
      - .offset:         8
        .size:           8
        .value_kind:     by_value
      - .actual_access:  read_only
        .address_space:  global
        .offset:         16
        .size:           8
        .value_kind:     global_buffer
      - .actual_access:  read_only
        .address_space:  global
        .offset:         24
        .size:           8
        .value_kind:     global_buffer
      - .offset:         32
        .size:           8
        .value_kind:     by_value
      - .actual_access:  read_only
        .address_space:  global
        .offset:         40
        .size:           8
        .value_kind:     global_buffer
      - .actual_access:  read_only
        .address_space:  global
        .offset:         48
        .size:           8
        .value_kind:     global_buffer
      - .offset:         56
        .size:           4
        .value_kind:     by_value
      - .actual_access:  read_only
        .address_space:  global
        .offset:         64
        .size:           8
        .value_kind:     global_buffer
      - .actual_access:  read_only
        .address_space:  global
        .offset:         72
        .size:           8
        .value_kind:     global_buffer
      - .address_space:  global
        .offset:         80
        .size:           8
        .value_kind:     global_buffer
    .group_segment_fixed_size: 0
    .kernarg_segment_align: 8
    .kernarg_segment_size: 88
    .language:       OpenCL C
    .language_version:
      - 2
      - 0
    .max_flat_workgroup_size: 130
    .name:           fft_rtc_fwd_len1300_factors_10_10_13_wgs_130_tpt_130_dp_ip_CI_unitstride_sbrr_R2C_dirReg
    .private_segment_fixed_size: 20
    .sgpr_count:     44
    .sgpr_spill_count: 0
    .symbol:         fft_rtc_fwd_len1300_factors_10_10_13_wgs_130_tpt_130_dp_ip_CI_unitstride_sbrr_R2C_dirReg.kd
    .uniform_work_group_size: 1
    .uses_dynamic_stack: false
    .vgpr_count:     255
    .vgpr_spill_count: 4
    .wavefront_size: 32
    .workgroup_processor_mode: 1
amdhsa.target:   amdgcn-amd-amdhsa--gfx1201
amdhsa.version:
  - 1
  - 2
...

	.end_amdgpu_metadata
